;; amdgpu-corpus repo=ROCm/rocFFT kind=compiled arch=gfx1201 opt=O3
	.text
	.amdgcn_target "amdgcn-amd-amdhsa--gfx1201"
	.amdhsa_code_object_version 6
	.protected	bluestein_single_fwd_len140_dim1_half_op_CI_CI ; -- Begin function bluestein_single_fwd_len140_dim1_half_op_CI_CI
	.globl	bluestein_single_fwd_len140_dim1_half_op_CI_CI
	.p2align	8
	.type	bluestein_single_fwd_len140_dim1_half_op_CI_CI,@function
bluestein_single_fwd_len140_dim1_half_op_CI_CI: ; @bluestein_single_fwd_len140_dim1_half_op_CI_CI
; %bb.0:
	s_load_b128 s[8:11], s[0:1], 0x28
	v_mul_u32_u24_e32 v1, 0x925, v0
	v_mov_b32_e32 v11, 0
	s_mov_b32 s2, exec_lo
	s_delay_alu instid0(VALU_DEP_2) | instskip(NEXT) | instid1(VALU_DEP_1)
	v_lshrrev_b32_e32 v1, 16, v1
	v_lshl_add_u32 v10, ttmp9, 1, v1
	s_wait_kmcnt 0x0
	s_delay_alu instid0(VALU_DEP_1)
	v_cmpx_gt_u64_e64 s[8:9], v[10:11]
	s_cbranch_execz .LBB0_23
; %bb.1:
	v_mul_lo_u16 v2, v1, 28
	s_clause 0x1
	s_load_b64 s[12:13], s[0:1], 0x0
	s_load_b64 s[8:9], s[0:1], 0x38
	v_and_b32_e32 v1, 1, v1
	v_sub_nc_u16 v0, v0, v2
	s_delay_alu instid0(VALU_DEP_2) | instskip(NEXT) | instid1(VALU_DEP_2)
	v_cmp_eq_u32_e32 vcc_lo, 1, v1
	v_and_b32_e32 v19, 0xffff, v0
	v_cndmask_b32_e64 v6, 0, 0x8c, vcc_lo
	v_cmp_gt_u16_e32 vcc_lo, 20, v0
	s_delay_alu instid0(VALU_DEP_3) | instskip(NEXT) | instid1(VALU_DEP_3)
	v_lshlrev_b32_e32 v20, 2, v19
	v_lshlrev_b32_e32 v22, 2, v6
	s_and_saveexec_b32 s3, vcc_lo
	s_cbranch_execz .LBB0_3
; %bb.2:
	s_load_b64 s[4:5], s[0:1], 0x18
	s_wait_kmcnt 0x0
	s_load_b128 s[4:7], s[4:5], 0x0
	s_wait_kmcnt 0x0
	v_mad_co_u64_u32 v[0:1], null, s6, v10, 0
	v_mad_co_u64_u32 v[2:3], null, s4, v19, 0
	s_delay_alu instid0(VALU_DEP_1) | instskip(NEXT) | instid1(VALU_DEP_1)
	v_mad_co_u64_u32 v[4:5], null, s7, v10, v[1:2]
	v_mad_co_u64_u32 v[7:8], null, s5, v19, v[3:4]
	v_mov_b32_e32 v1, v4
	s_mul_u64 s[4:5], s[4:5], 0x50
	s_delay_alu instid0(VALU_DEP_1) | instskip(NEXT) | instid1(VALU_DEP_3)
	v_lshlrev_b64_e32 v[0:1], 2, v[0:1]
	v_mov_b32_e32 v3, v7
	s_clause 0x6
	global_load_b32 v7, v20, s[12:13]
	global_load_b32 v8, v20, s[12:13] offset:80
	global_load_b32 v9, v20, s[12:13] offset:160
	;; [unrolled: 1-line block ×6, first 2 shown]
	v_add_co_u32 v0, s2, s10, v0
	v_lshlrev_b64_e32 v[2:3], 2, v[2:3]
	v_add_co_ci_u32_e64 v1, s2, s11, v1, s2
	s_delay_alu instid0(VALU_DEP_2) | instskip(SKIP_1) | instid1(VALU_DEP_2)
	v_add_co_u32 v0, s2, v0, v2
	s_wait_alu 0xf1ff
	v_add_co_ci_u32_e64 v1, s2, v1, v3, s2
	s_wait_alu 0xfffe
	s_delay_alu instid0(VALU_DEP_2) | instskip(SKIP_1) | instid1(VALU_DEP_2)
	v_add_co_u32 v2, s2, v0, s4
	s_wait_alu 0xf1ff
	v_add_co_ci_u32_e64 v3, s2, s5, v1, s2
	s_clause 0x1
	global_load_b32 v15, v[0:1], off
	global_load_b32 v16, v[2:3], off
	v_add_co_u32 v0, s2, v2, s4
	s_wait_alu 0xf1ff
	v_add_co_ci_u32_e64 v1, s2, s5, v3, s2
	s_delay_alu instid0(VALU_DEP_2) | instskip(SKIP_1) | instid1(VALU_DEP_2)
	v_add_co_u32 v2, s2, v0, s4
	s_wait_alu 0xf1ff
	v_add_co_ci_u32_e64 v3, s2, s5, v1, s2
	s_clause 0x1
	global_load_b32 v17, v[0:1], off
	global_load_b32 v18, v[2:3], off
	v_add_co_u32 v0, s2, v2, s4
	s_wait_alu 0xf1ff
	v_add_co_ci_u32_e64 v1, s2, s5, v3, s2
	s_delay_alu instid0(VALU_DEP_2) | instskip(SKIP_1) | instid1(VALU_DEP_2)
	v_add_co_u32 v2, s2, v0, s4
	s_wait_alu 0xf1ff
	v_add_co_ci_u32_e64 v3, s2, s5, v1, s2
	s_delay_alu instid0(VALU_DEP_2) | instskip(SKIP_1) | instid1(VALU_DEP_2)
	v_add_co_u32 v4, s2, v2, s4
	s_wait_alu 0xf1ff
	v_add_co_ci_u32_e64 v5, s2, s5, v3, s2
	global_load_b32 v0, v[0:1], off
	global_load_b32 v1, v[2:3], off
	;; [unrolled: 1-line block ×3, first 2 shown]
	v_lshl_add_u32 v3, v19, 2, v22
	v_add_nc_u32_e32 v4, v22, v20
	s_wait_loadcnt 0xd
	v_lshrrev_b32_e32 v5, 16, v7
	s_wait_loadcnt 0xc
	v_lshrrev_b32_e32 v21, 16, v8
	s_wait_loadcnt 0xb
	v_lshrrev_b32_e32 v23, 16, v9
	s_wait_loadcnt 0xa
	v_lshrrev_b32_e32 v25, 16, v11
	s_wait_loadcnt 0x9
	v_lshrrev_b32_e32 v26, 16, v12
	s_wait_loadcnt 0x8
	v_lshrrev_b32_e32 v27, 16, v13
	s_wait_loadcnt 0x7
	v_lshrrev_b32_e32 v31, 16, v14
	s_wait_loadcnt 0x6
	v_lshrrev_b32_e32 v24, 16, v15
	v_mul_f16_e32 v28, v5, v15
	s_wait_loadcnt 0x5
	v_lshrrev_b32_e32 v29, 16, v16
	v_mul_f16_e32 v30, v21, v16
	v_mul_f16_e32 v5, v5, v24
	v_fma_f16 v24, v7, v24, -v28
	s_delay_alu instid0(VALU_DEP_2)
	v_fmac_f16_e32 v5, v7, v15
	v_mul_f16_e32 v7, v21, v29
	v_fma_f16 v15, v8, v29, -v30
	s_wait_loadcnt 0x4
	v_lshrrev_b32_e32 v21, 16, v17
	v_mul_f16_e32 v28, v23, v17
	v_pack_b32_f16 v5, v5, v24
	v_fmac_f16_e32 v7, v8, v16
	s_wait_loadcnt 0x3
	v_lshrrev_b32_e32 v8, 16, v18
	v_mul_f16_e32 v16, v23, v21
	v_mul_f16_e32 v23, v25, v18
	v_fma_f16 v21, v9, v21, -v28
	v_pack_b32_f16 v7, v7, v15
	v_mul_f16_e32 v15, v25, v8
	v_fmac_f16_e32 v16, v9, v17
	v_fma_f16 v8, v11, v8, -v23
	s_delay_alu instid0(VALU_DEP_3)
	v_fmac_f16_e32 v15, v11, v18
	s_wait_loadcnt 0x2
	v_lshrrev_b32_e32 v9, 16, v0
	v_mul_f16_e32 v17, v26, v0
	s_wait_loadcnt 0x1
	v_lshrrev_b32_e32 v11, 16, v1
	s_wait_loadcnt 0x0
	v_lshrrev_b32_e32 v18, 16, v2
	v_pack_b32_f16 v8, v15, v8
	v_mul_f16_e32 v23, v26, v9
	v_fma_f16 v9, v12, v9, -v17
	v_mul_f16_e32 v17, v27, v1
	v_mul_f16_e32 v24, v27, v11
	;; [unrolled: 1-line block ×4, first 2 shown]
	v_fmac_f16_e32 v23, v12, v0
	v_fma_f16 v0, v13, v11, -v17
	v_fmac_f16_e32 v24, v13, v1
	v_fmac_f16_e32 v25, v14, v2
	v_fma_f16 v1, v14, v18, -v26
	v_pack_b32_f16 v2, v16, v21
	v_pack_b32_f16 v9, v23, v9
	v_pack_b32_f16 v0, v24, v0
	s_delay_alu instid0(VALU_DEP_4)
	v_pack_b32_f16 v1, v25, v1
	ds_store_b32 v3, v5
	ds_store_2addr_b32 v4, v7, v2 offset0:20 offset1:40
	ds_store_2addr_b32 v4, v8, v9 offset0:60 offset1:80
	ds_store_2addr_b32 v4, v0, v1 offset0:100 offset1:120
.LBB0_3:
	s_or_b32 exec_lo, exec_lo, s3
	s_clause 0x1
	s_load_b64 s[4:5], s[0:1], 0x20
	s_load_b64 s[2:3], s[0:1], 0x8
	v_dual_mov_b32 v1, 0 :: v_dual_mov_b32 v2, 0
	v_mov_b32_e32 v4, 0
	v_mov_b32_e32 v0, 0
	global_wb scope:SCOPE_SE
	s_wait_dscnt 0x0
	s_wait_kmcnt 0x0
	s_barrier_signal -1
	s_barrier_wait -1
	global_inv scope:SCOPE_SE
                                        ; implicit-def: $vgpr7
	s_and_saveexec_b32 s0, vcc_lo
	s_cbranch_execz .LBB0_5
; %bb.4:
	v_lshl_add_u32 v0, v6, 2, v20
	ds_load_2addr_b32 v[2:3], v0 offset0:40 offset1:60
	ds_load_2addr_b32 v[4:5], v0 offset0:80 offset1:100
	ds_load_b32 v7, v0 offset:480
	ds_load_2addr_b32 v[0:1], v0 offset1:20
.LBB0_5:
	s_wait_alu 0xfffe
	s_or_b32 exec_lo, exec_lo, s0
	s_wait_dscnt 0x0
	v_pk_add_f16 v8, v7, v1
	v_pk_add_f16 v9, v5, v2
	v_pk_add_f16 v5, v2, v5 neg_lo:[0,1] neg_hi:[0,1]
	v_pk_add_f16 v11, v4, v3 neg_lo:[0,1] neg_hi:[0,1]
	v_pk_add_f16 v3, v3, v4
	v_pk_add_f16 v2, v1, v7 neg_lo:[0,1] neg_hi:[0,1]
	v_pk_add_f16 v4, v8, v9
	v_pk_add_f16 v1, v9, v8 neg_lo:[0,1] neg_hi:[0,1]
	v_pk_add_f16 v7, v5, v11 op_sel:[1,1] op_sel_hi:[0,0]
	v_pk_add_f16 v8, v8, v3 neg_lo:[0,1] neg_hi:[0,1]
	v_pk_add_f16 v13, v5, v2 op_sel:[1,1] op_sel_hi:[0,0] neg_lo:[0,1] neg_hi:[0,1]
	v_pk_add_f16 v4, v4, v3
	v_pk_add_f16 v5, v11, v5 op_sel:[1,1] op_sel_hi:[0,0] neg_lo:[0,1] neg_hi:[0,1]
	v_pk_add_f16 v9, v3, v9 neg_lo:[0,1] neg_hi:[0,1]
	v_pk_add_f16 v12, v2, v11 op_sel:[1,1] op_sel_hi:[0,0] neg_lo:[0,1] neg_hi:[0,1]
	v_pk_add_f16 v2, v2, v7 op_sel:[1,0] op_sel_hi:[0,1]
	v_pk_add_f16 v0, v4, v0
	v_pk_mul_f16 v11, 0x3a52, v8 op_sel_hi:[0,1]
	v_pk_mul_f16 v3, 0x3b00, v13 op_sel_hi:[0,1]
	;; [unrolled: 1-line block ×4, first 2 shown]
	v_pk_fma_f16 v4, 0xbcab, v4, v0 op_sel_hi:[0,1,1]
	v_pk_fma_f16 v9, 0x39e0, v1, v11 op_sel_hi:[0,1,1] neg_lo:[0,1,1] neg_hi:[0,1,1]
	v_pk_fma_f16 v11, 0x3574, v12, v3 op_sel_hi:[0,1,1] neg_lo:[0,1,1] neg_hi:[0,1,1]
	v_pk_fma_f16 v12, 0x3574, v12, v7 op_sel_hi:[0,1,1]
	v_pk_fma_f16 v8, 0x3a52, v8, v5 op_sel_hi:[0,1,1]
	v_mul_lo_u16 v25, v19, 7
	v_pk_add_f16 v9, v9, v4
	v_pk_fma_f16 v11, 0x370e, v2, v11 op_sel_hi:[0,1,1]
	v_pk_fma_f16 v12, 0x370e, v2, v12 op_sel_hi:[0,1,1]
	v_pk_add_f16 v13, v8, v4
	global_wb scope:SCOPE_SE
	s_barrier_signal -1
	v_pk_add_f16 v8, v9, v11
	v_pk_add_f16 v9, v9, v11 neg_lo:[0,1] neg_hi:[0,1]
	v_pk_add_f16 v11, v13, v12
	v_pk_add_f16 v14, v13, v12 neg_lo:[0,1] neg_hi:[0,1]
	s_barrier_wait -1
	global_inv scope:SCOPE_SE
	v_bfi_b32 v12, 0xffff, v9, v8
	v_bfi_b32 v13, 0xffff, v14, v11
	s_and_saveexec_b32 s0, vcc_lo
	s_cbranch_execz .LBB0_7
; %bb.6:
	v_pk_mul_f16 v1, 0x39e0, v1 op_sel_hi:[0,1]
	v_pk_mul_f16 v2, 0x370e, v2 op_sel_hi:[0,1]
	v_pk_add_f16 v3, v3, v7 neg_lo:[0,1] neg_hi:[0,1]
	s_delay_alu instid0(VALU_DEP_3) | instskip(SKIP_1) | instid1(VALU_DEP_3)
	v_pk_add_f16 v1, v1, v5 neg_lo:[0,1] neg_hi:[0,1]
	v_bfi_b32 v5, 0xffff, v8, v9
	v_pk_add_f16 v2, v3, v2
	v_and_b32_e32 v3, 0xffff, v25
	s_delay_alu instid0(VALU_DEP_4) | instskip(NEXT) | instid1(VALU_DEP_2)
	v_pk_add_f16 v1, v1, v4
	v_add_lshl_u32 v3, v6, v3, 2
	s_delay_alu instid0(VALU_DEP_2) | instskip(SKIP_2) | instid1(VALU_DEP_2)
	v_pk_add_f16 v4, v1, v2 neg_lo:[0,1] neg_hi:[0,1]
	v_pk_add_f16 v1, v1, v2
	v_bfi_b32 v2, 0xffff, v11, v14
	v_bfi_b32 v7, 0xffff, v4, v1
	;; [unrolled: 1-line block ×3, first 2 shown]
	ds_store_2addr_b32 v3, v0, v2 offset1:1
	ds_store_2addr_b32 v3, v5, v7 offset0:2 offset1:3
	ds_store_2addr_b32 v3, v1, v12 offset0:4 offset1:5
	ds_store_b32 v3, v13 offset:24
.LBB0_7:
	s_wait_alu 0xfffe
	s_or_b32 exec_lo, exec_lo, s0
	v_and_b32_e32 v0, 0xff, v19
	s_load_b128 s[4:7], s[4:5], 0x0
	global_wb scope:SCOPE_SE
	s_wait_dscnt 0x0
	s_wait_kmcnt 0x0
	s_barrier_signal -1
	s_barrier_wait -1
	v_mul_lo_u16 v0, v0, 37
	global_inv scope:SCOPE_SE
	v_add_lshl_u32 v23, v6, v19, 2
	v_cmp_gt_u16_e64 s0, 7, v19
	v_lshrrev_b16 v0, 8, v0
	s_delay_alu instid0(VALU_DEP_1) | instskip(NEXT) | instid1(VALU_DEP_1)
	v_sub_nc_u16 v1, v19, v0
	v_lshrrev_b16 v1, 1, v1
	s_delay_alu instid0(VALU_DEP_1) | instskip(NEXT) | instid1(VALU_DEP_1)
	v_and_b32_e32 v1, 0x7f, v1
	v_add_nc_u16 v0, v1, v0
	s_delay_alu instid0(VALU_DEP_1) | instskip(NEXT) | instid1(VALU_DEP_1)
	v_lshrrev_b16 v9, 2, v0
	v_mul_lo_u16 v0, v9, 7
	s_delay_alu instid0(VALU_DEP_1) | instskip(NEXT) | instid1(VALU_DEP_1)
	v_sub_nc_u16 v11, v19, v0
	v_lshlrev_b16 v0, 2, v11
	v_mad_u16 v9, v9, 35, v11
	s_delay_alu instid0(VALU_DEP_2) | instskip(NEXT) | instid1(VALU_DEP_2)
	v_and_b32_e32 v0, 0xfc, v0
	v_and_b32_e32 v9, 0xff, v9
	s_delay_alu instid0(VALU_DEP_2) | instskip(NEXT) | instid1(VALU_DEP_2)
	v_lshlrev_b32_e32 v0, 2, v0
	v_add_lshl_u32 v24, v6, v9, 2
	global_load_b128 v[0:3], v0, s[2:3]
	ds_load_2addr_b32 v[4:5], v23 offset1:28
	ds_load_2addr_b32 v[7:8], v23 offset0:56 offset1:84
	ds_load_b32 v14, v23 offset:448
	global_wb scope:SCOPE_SE
	s_wait_loadcnt_dscnt 0x0
	s_barrier_signal -1
	s_barrier_wait -1
	global_inv scope:SCOPE_SE
	v_lshrrev_b32_e32 v11, 16, v5
	v_lshrrev_b32_e32 v16, 16, v7
	;; [unrolled: 1-line block ×9, first 2 shown]
	s_delay_alu instid0(VALU_DEP_4)
	v_mul_f16_e32 v6, v11, v32
	v_mul_f16_e32 v9, v5, v32
	;; [unrolled: 1-line block ×8, first 2 shown]
	v_fma_f16 v5, v5, v0, -v6
	v_fmac_f16_e32 v9, v11, v0
	v_fma_f16 v6, v7, v1, -v21
	v_fmac_f16_e32 v26, v16, v1
	;; [unrolled: 2-line block ×4, first 2 shown]
	v_add_f16_e32 v11, v4, v5
	v_add_f16_e32 v14, v6, v7
	v_sub_f16_e32 v18, v5, v6
	v_sub_f16_e32 v21, v8, v7
	v_add_f16_e32 v36, v15, v9
	v_add_f16_e32 v37, v26, v28
	;; [unrolled: 1-line block ×4, first 2 shown]
	v_sub_f16_e32 v16, v9, v34
	v_sub_f16_e32 v17, v26, v28
	;; [unrolled: 1-line block ×7, first 2 shown]
	v_add_f16_e32 v6, v11, v6
	v_fma_f16 v11, -0.5, v14, v4
	v_add_f16_e32 v14, v18, v21
	v_add_f16_e32 v26, v36, v26
	v_fma_f16 v21, -0.5, v37, v15
	v_sub_f16_e32 v35, v7, v8
	v_fmac_f16_e32 v4, -0.5, v27
	v_fmac_f16_e32 v15, -0.5, v41
	v_sub_f16_e32 v40, v34, v28
	v_sub_f16_e32 v42, v28, v34
	v_add_f16_e32 v6, v6, v7
	v_fmamk_f16 v7, v16, 0x3b9c, v11
	v_add_f16_e32 v26, v26, v28
	v_fmamk_f16 v28, v5, 0xbb9c, v21
	;; [unrolled: 2-line block ×3, first 2 shown]
	v_fmac_f16_e32 v4, 0x3b9c, v17
	v_fmamk_f16 v35, v38, 0x3b9c, v15
	v_fmac_f16_e32 v15, 0xbb9c, v38
	v_fmac_f16_e32 v11, 0xbb9c, v16
	;; [unrolled: 1-line block ×3, first 2 shown]
	v_add_f16_e32 v27, v39, v40
	v_fmac_f16_e32 v7, 0x38b4, v17
	v_fmac_f16_e32 v28, 0xb8b4, v38
	v_add_f16_e32 v9, v9, v42
	v_fmac_f16_e32 v29, 0x38b4, v16
	v_fmac_f16_e32 v4, 0xb8b4, v16
	;; [unrolled: 1-line block ×6, first 2 shown]
	v_add_f16_e32 v6, v6, v8
	v_add_f16_e32 v8, v26, v34
	v_fmac_f16_e32 v7, 0x34f2, v14
	v_fmac_f16_e32 v28, 0x34f2, v27
	;; [unrolled: 1-line block ×8, first 2 shown]
	v_pack_b32_f16 v5, v6, v8
	v_pack_b32_f16 v6, v7, v28
	;; [unrolled: 1-line block ×5, first 2 shown]
	ds_store_2addr_b32 v24, v5, v6 offset1:7
	ds_store_2addr_b32 v24, v7, v4 offset0:14 offset1:21
	ds_store_b32 v24, v8 offset:112
	global_wb scope:SCOPE_SE
	s_wait_dscnt 0x0
	s_barrier_signal -1
	s_barrier_wait -1
	global_inv scope:SCOPE_SE
	ds_load_2addr_b32 v[15:16], v23 offset1:35
	ds_load_2addr_b32 v[17:18], v23 offset0:70 offset1:105
                                        ; implicit-def: $vgpr34
	s_and_saveexec_b32 s1, s0
	s_cbranch_execz .LBB0_9
; %bb.8:
	ds_load_2addr_b32 v[11:12], v23 offset0:28 offset1:63
	ds_load_2addr_b32 v[13:14], v23 offset0:98 offset1:133
	s_wait_dscnt 0x1
	v_lshrrev_b32_e32 v21, 16, v11
	s_wait_dscnt 0x0
	v_lshrrev_b32_e32 v34, 16, v14
.LBB0_9:
	s_wait_alu 0xfffe
	s_or_b32 exec_lo, exec_lo, s1
	v_add_nc_u32_e32 v6, 28, v19
	v_add_nc_u32_e32 v7, -7, v19
	v_mad_co_u64_u32 v[4:5], null, v19, 12, s[2:3]
	s_wait_dscnt 0x1
	v_lshrrev_b32_e32 v26, 16, v16
	v_perm_b32 v11, v21, v11, 0x5040100
	v_cndmask_b32_e64 v6, v7, v6, s0
	s_wait_dscnt 0x0
	v_lshrrev_b32_e32 v35, 16, v17
	v_lshrrev_b32_e32 v36, 16, v18
	v_alignbit_b32 v38, s0, v13, 16
	global_load_b96 v[7:9], v[4:5], off offset:112
	v_mul_i32_i24_e32 v4, 12, v6
	v_mul_hi_i32_i24_e32 v5, 12, v6
	v_alignbit_b32 v37, s0, v12, 16
	s_delay_alu instid0(VALU_DEP_3) | instskip(SKIP_1) | instid1(VALU_DEP_3)
	v_add_co_u32 v4, s1, s2, v4
	s_wait_alu 0xf1ff
	v_add_co_ci_u32_e64 v5, s1, s3, v5, s1
	global_load_b96 v[4:6], v[4:5], off offset:112
	s_wait_loadcnt 0x1
	v_lshrrev_b32_e32 v28, 16, v7
	v_lshrrev_b32_e32 v27, 16, v8
	;; [unrolled: 1-line block ×3, first 2 shown]
	s_delay_alu instid0(VALU_DEP_3) | instskip(SKIP_1) | instid1(VALU_DEP_4)
	v_mul_f16_e32 v21, v26, v28
	v_mul_f16_e32 v39, v16, v28
	;; [unrolled: 1-line block ×3, first 2 shown]
	s_delay_alu instid0(VALU_DEP_4)
	v_mul_f16_e32 v43, v18, v29
	v_mul_f16_e32 v40, v35, v27
	v_fma_f16 v16, v16, v7, -v21
	v_mul_f16_e32 v42, v36, v29
	v_fmac_f16_e32 v39, v26, v7
	s_wait_loadcnt 0x0
	v_alignbit_b32 v21, v4, v4, 16
	v_fmac_f16_e32 v41, v35, v8
	v_fmac_f16_e32 v43, v36, v9
	v_lshrrev_b32_e32 v26, 16, v6
	v_pk_mul_f16 v35, v38, v5 op_sel:[0,1] op_sel_hi:[1,0]
	v_pk_mul_f16 v36, v13, v5 op_sel:[0,1] op_sel_hi:[1,0]
	v_pk_mul_f16 v38, v12, v21
	v_fma_f16 v17, v17, v8, -v40
	v_pack_b32_f16 v16, v39, v16
	v_pk_mul_f16 v37, v37, v21
	v_alignbit_b32 v36, s0, v36, 16
	v_mul_f16_e32 v39, v34, v26
	v_mul_f16_e32 v40, v14, v26
	v_alignbit_b32 v38, s0, v38, 16
	v_fma_f16 v18, v18, v9, -v42
	v_pk_fma_f16 v35, v13, v5, v35 neg_lo:[0,0,1] neg_hi:[0,0,1]
	v_pk_fma_f16 v37, v12, v4, v37 neg_lo:[0,0,1] neg_hi:[0,0,1]
	v_pk_fma_f16 v13, v13, v5, v36 op_sel:[0,1,0] op_sel_hi:[1,0,1]
	v_fma_f16 v14, v14, v6, -v39
	v_fmac_f16_e32 v40, v34, v6
	v_pk_fma_f16 v12, v12, v21, v38
	v_pack_b32_f16 v17, v17, v41
	v_pack_b32_f16 v18, v43, v18
	;; [unrolled: 1-line block ×5, first 2 shown]
	v_pk_add_f16 v17, v15, v17 neg_lo:[0,1] neg_hi:[0,1]
	v_pk_add_f16 v18, v16, v18 neg_lo:[0,1] neg_hi:[0,1]
	v_pk_add_f16 v37, v11, v13 neg_lo:[0,1] neg_hi:[0,1]
	v_lshl_add_u32 v21, v19, 2, v22
	v_pk_add_f16 v13, v12, v14 neg_lo:[0,1] neg_hi:[0,1]
	v_pk_fma_f16 v36, v15, 2.0, v17 op_sel_hi:[1,0,1] neg_lo:[0,0,1] neg_hi:[0,0,1]
	v_pk_fma_f16 v14, v16, 2.0, v18 op_sel_hi:[1,0,1] neg_lo:[0,0,1] neg_hi:[0,0,1]
	v_pk_add_f16 v16, v17, v18 neg_lo:[0,1] neg_hi:[0,1]
	v_pk_add_f16 v18, v17, v18
	v_pk_fma_f16 v38, v11, 2.0, v37 op_sel_hi:[1,0,1] neg_lo:[0,0,1] neg_hi:[0,0,1]
	v_pk_fma_f16 v11, v12, 2.0, v13 op_sel_hi:[1,0,1] neg_lo:[0,0,1] neg_hi:[0,0,1]
	v_pk_add_f16 v12, v37, v13 op_sel:[0,1] op_sel_hi:[1,0] neg_lo:[0,1] neg_hi:[0,1]
	v_pk_add_f16 v34, v37, v13 op_sel:[0,1] op_sel_hi:[1,0]
	v_pk_add_f16 v15, v36, v14 op_sel:[0,1] op_sel_hi:[1,0] neg_lo:[0,1] neg_hi:[0,1]
	v_bfi_b32 v16, 0xffff, v16, v18
	v_pk_add_f16 v11, v38, v11 neg_lo:[0,1] neg_hi:[0,1]
	s_delay_alu instid0(VALU_DEP_4) | instskip(NEXT) | instid1(VALU_DEP_4)
	v_bfi_b32 v35, 0xffff, v12, v34
	v_pk_fma_f16 v13, v36, 2.0, v15 op_sel_hi:[1,0,1] neg_lo:[0,0,1] neg_hi:[0,0,1]
	s_delay_alu instid0(VALU_DEP_4) | instskip(NEXT) | instid1(VALU_DEP_4)
	v_pk_fma_f16 v14, v17, 2.0, v16 op_sel_hi:[1,0,1] neg_lo:[0,0,1] neg_hi:[0,0,1]
	v_pk_fma_f16 v17, v38, 2.0, v11 op_sel_hi:[1,0,1] neg_lo:[0,0,1] neg_hi:[0,0,1]
	ds_store_2addr_b32 v21, v13, v14 offset1:35
	ds_store_2addr_b32 v21, v15, v16 offset0:70 offset1:105
	v_pk_fma_f16 v18, v37, 2.0, v35 op_sel_hi:[1,0,1] neg_lo:[0,0,1] neg_hi:[0,0,1]
	s_and_saveexec_b32 s1, s0
	s_cbranch_execz .LBB0_11
; %bb.10:
	ds_store_2addr_b32 v21, v17, v18 offset0:28 offset1:63
	ds_store_2addr_b32 v21, v11, v35 offset0:98 offset1:133
.LBB0_11:
	s_wait_alu 0xfffe
	s_or_b32 exec_lo, exec_lo, s1
	global_wb scope:SCOPE_SE
	s_wait_dscnt 0x0
	s_barrier_signal -1
	s_barrier_wait -1
	global_inv scope:SCOPE_SE
	s_and_saveexec_b32 s1, vcc_lo
	s_cbranch_execz .LBB0_13
; %bb.12:
	s_add_nc_u64 s[2:3], s[12:13], 0x230
	s_clause 0x6
	global_load_b32 v41, v20, s[12:13] offset:560
	global_load_b32 v42, v20, s[2:3] offset:80
	;; [unrolled: 1-line block ×7, first 2 shown]
	ds_load_2addr_b32 v[35:36], v21 offset1:20
	ds_load_2addr_b32 v[37:38], v21 offset0:40 offset1:60
	ds_load_2addr_b32 v[39:40], v21 offset0:80 offset1:100
	ds_load_b32 v48, v21 offset:480
	s_wait_dscnt 0x3
	v_lshrrev_b32_e32 v49, 16, v35
	v_lshrrev_b32_e32 v50, 16, v36
	s_wait_dscnt 0x2
	v_lshrrev_b32_e32 v51, 16, v37
	v_lshrrev_b32_e32 v52, 16, v38
	;; [unrolled: 3-line block ×3, first 2 shown]
	s_wait_dscnt 0x0
	v_lshrrev_b32_e32 v55, 16, v48
	s_wait_loadcnt 0x6
	v_lshrrev_b32_e32 v56, 16, v41
	s_wait_loadcnt 0x5
	;; [unrolled: 2-line block ×7, first 2 shown]
	v_lshrrev_b32_e32 v62, 16, v47
	v_mul_f16_e32 v63, v49, v56
	v_mul_f16_e32 v56, v35, v56
	;; [unrolled: 1-line block ×14, first 2 shown]
	v_fma_f16 v35, v35, v41, -v63
	v_fmac_f16_e32 v56, v49, v41
	v_fma_f16 v36, v36, v42, -v64
	v_fmac_f16_e32 v57, v50, v42
	;; [unrolled: 2-line block ×7, first 2 shown]
	v_pack_b32_f16 v35, v35, v56
	v_pack_b32_f16 v36, v36, v57
	;; [unrolled: 1-line block ×7, first 2 shown]
	ds_store_2addr_b32 v21, v35, v36 offset1:20
	ds_store_2addr_b32 v21, v37, v38 offset0:40 offset1:60
	ds_store_2addr_b32 v21, v39, v40 offset0:80 offset1:100
	ds_store_b32 v21, v41 offset:480
.LBB0_13:
	s_wait_alu 0xfffe
	s_or_b32 exec_lo, exec_lo, s1
	global_wb scope:SCOPE_SE
	s_wait_dscnt 0x0
	s_barrier_signal -1
	s_barrier_wait -1
	global_inv scope:SCOPE_SE
	s_and_saveexec_b32 s1, vcc_lo
	s_cbranch_execz .LBB0_15
; %bb.14:
	ds_load_2addr_b32 v[13:14], v21 offset1:20
	ds_load_2addr_b32 v[15:16], v21 offset0:40 offset1:60
	ds_load_2addr_b32 v[17:18], v21 offset0:80 offset1:100
	ds_load_b32 v11, v21 offset:480
.LBB0_15:
	s_wait_alu 0xfffe
	s_or_b32 exec_lo, exec_lo, s1
	s_wait_dscnt 0x0
	v_pk_add_f16 v35, v11, v14
	v_pk_add_f16 v36, v18, v15
	v_pk_add_f16 v15, v15, v18 neg_lo:[0,1] neg_hi:[0,1]
	v_pk_add_f16 v37, v17, v16
	v_pk_add_f16 v16, v17, v16 neg_lo:[0,1] neg_hi:[0,1]
	v_pk_add_f16 v11, v14, v11 neg_lo:[0,1] neg_hi:[0,1]
	v_pk_add_f16 v38, v35, v36
	v_pk_add_f16 v18, v36, v35 neg_lo:[0,1] neg_hi:[0,1]
	v_pk_add_f16 v35, v35, v37 neg_lo:[0,1] neg_hi:[0,1]
	v_pk_add_f16 v14, v16, v15 op_sel:[1,1] op_sel_hi:[0,0] neg_lo:[0,1] neg_hi:[0,1]
	v_pk_add_f16 v39, v16, v15 op_sel:[1,1] op_sel_hi:[0,0]
	v_pk_add_f16 v38, v37, v38
	v_pk_add_f16 v15, v15, v11 op_sel:[1,1] op_sel_hi:[0,0] neg_lo:[0,1] neg_hi:[0,1]
	v_pk_add_f16 v17, v37, v36 neg_lo:[0,1] neg_hi:[0,1]
	v_pk_add_f16 v16, v11, v16 op_sel:[1,1] op_sel_hi:[0,0] neg_lo:[0,1] neg_hi:[0,1]
	v_pk_mul_f16 v40, 0x3a52, v35 op_sel_hi:[0,1]
	v_pk_add_f16 v13, v13, v38
	v_pk_mul_f16 v36, 0x3846, v14 op_sel_hi:[0,1]
	v_pk_mul_f16 v37, 0xbb00, v15 op_sel_hi:[0,1]
	v_pk_add_f16 v41, v39, v11 op_sel:[0,1] op_sel_hi:[1,0]
	v_pk_fma_f16 v11, 0x39e0, v18, v40 op_sel_hi:[0,1,1] neg_lo:[0,1,1] neg_hi:[0,1,1]
	v_pk_fma_f16 v35, 0xbcab, v38, v13 op_sel_hi:[0,1,1]
	v_pk_fma_f16 v14, 0xb574, v16, v36 op_sel_hi:[0,1,1]
	v_pk_fma_f16 v15, 0xb574, v16, v37 op_sel_hi:[0,1,1] neg_lo:[0,1,1] neg_hi:[0,1,1]
	v_pk_fma_f16 v16, 0x2b26, v17, v40 op_sel_hi:[0,1,1]
	global_wb scope:SCOPE_SE
	v_pk_add_f16 v11, v11, v35
	v_pk_fma_f16 v38, 0xb70e, v41, v14 op_sel_hi:[0,1,1]
	v_pk_fma_f16 v14, 0xb70e, v41, v15 op_sel_hi:[0,1,1]
	v_pk_add_f16 v40, v16, v35
	s_barrier_signal -1
	s_barrier_wait -1
	v_lshrrev_b32_e32 v42, 16, v38
	v_pk_add_f16 v39, v14, v11
	v_lshrrev_b32_e32 v43, 16, v40
	v_pk_add_f16 v14, v11, v14 neg_lo:[0,1] neg_hi:[0,1]
	v_sub_f16_e32 v11, v40, v38
	global_inv scope:SCOPE_SE
	v_lshrrev_b32_e32 v15, 16, v39
	v_add_f16_e32 v16, v42, v43
	s_and_saveexec_b32 s1, vcc_lo
	s_cbranch_execz .LBB0_17
; %bb.16:
	v_pk_mul_f16 v17, 0x2b26, v17 op_sel_hi:[0,1]
	v_pk_mul_f16 v18, 0x39e0, v18 op_sel_hi:[0,1]
	;; [unrolled: 1-line block ×3, first 2 shown]
	v_pk_add_f16 v36, v37, v36 neg_lo:[0,1] neg_hi:[0,1]
	v_and_b32_e32 v25, 0xffff, v25
	s_delay_alu instid0(VALU_DEP_4) | instskip(NEXT) | instid1(VALU_DEP_3)
	v_pk_add_f16 v17, v18, v17 neg_lo:[0,1] neg_hi:[0,1]
	v_pk_add_f16 v18, v41, v36
	v_add_f16_e32 v36, v40, v38
	s_delay_alu instid0(VALU_DEP_4) | instskip(NEXT) | instid1(VALU_DEP_4)
	v_lshl_add_u32 v22, v25, 2, v22
	v_pk_add_f16 v17, v17, v35
	v_sub_f16_e32 v35, v43, v42
	v_perm_b32 v38, v15, v14, 0x5040100
	s_delay_alu instid0(VALU_DEP_3) | instskip(SKIP_1) | instid1(VALU_DEP_4)
	v_pk_add_f16 v37, v17, v18 neg_lo:[0,1] neg_hi:[0,1]
	v_pk_add_f16 v17, v17, v18
	v_pack_b32_f16 v25, v36, v35
	v_bfi_b32 v18, 0xffff, v39, v14
	v_perm_b32 v36, v16, v11, 0x5040100
	s_delay_alu instid0(VALU_DEP_4)
	v_bfi_b32 v35, 0xffff, v37, v17
	v_bfi_b32 v17, 0xffff, v17, v37
	ds_store_2addr_b32 v22, v13, v25 offset1:1
	ds_store_2addr_b32 v22, v18, v35 offset0:2 offset1:3
	ds_store_2addr_b32 v22, v17, v38 offset0:4 offset1:5
	ds_store_b32 v22, v36 offset:24
.LBB0_17:
	s_wait_alu 0xfffe
	s_or_b32 exec_lo, exec_lo, s1
	global_wb scope:SCOPE_SE
	s_wait_dscnt 0x0
	s_barrier_signal -1
	s_barrier_wait -1
	global_inv scope:SCOPE_SE
	ds_load_2addr_b32 v[35:36], v23 offset1:28
	ds_load_2addr_b32 v[17:18], v23 offset0:56 offset1:84
	ds_load_b32 v13, v23 offset:448
	global_wb scope:SCOPE_SE
	s_wait_dscnt 0x0
	s_barrier_signal -1
	s_barrier_wait -1
	global_inv scope:SCOPE_SE
	v_lshrrev_b32_e32 v25, 16, v36
	v_lshrrev_b32_e32 v37, 16, v17
	;; [unrolled: 1-line block ×4, first 2 shown]
	v_mul_f16_e32 v40, v32, v36
	v_mul_f16_e32 v41, v33, v17
	;; [unrolled: 1-line block ×8, first 2 shown]
	v_fmac_f16_e32 v32, v0, v36
	v_fmac_f16_e32 v33, v1, v17
	;; [unrolled: 1-line block ×3, first 2 shown]
	v_fma_f16 v25, v0, v25, -v40
	v_fmac_f16_e32 v30, v3, v13
	v_fma_f16 v37, v1, v37, -v41
	v_fma_f16 v38, v2, v38, -v42
	;; [unrolled: 1-line block ×3, first 2 shown]
	v_add_f16_e32 v18, v35, v32
	v_add_f16_e32 v13, v33, v31
	;; [unrolled: 1-line block ×3, first 2 shown]
	v_lshrrev_b32_e32 v22, 16, v35
	v_sub_f16_e32 v0, v25, v39
	v_add_f16_e32 v3, v37, v38
	v_fma_f16 v13, -0.5, v13, v35
	v_add_f16_e32 v18, v18, v33
	v_sub_f16_e32 v1, v37, v38
	v_sub_f16_e32 v36, v32, v33
	;; [unrolled: 1-line block ×3, first 2 shown]
	v_fmac_f16_e32 v35, -0.5, v41
	v_sub_f16_e32 v42, v33, v32
	v_fma_f16 v17, -0.5, v3, v22
	v_sub_f16_e32 v3, v32, v30
	v_fmamk_f16 v32, v0, 0xbb9c, v13
	v_fmac_f16_e32 v13, 0x3b9c, v0
	v_add_f16_e32 v18, v18, v31
	v_sub_f16_e32 v43, v31, v30
	v_add_f16_e32 v36, v36, v40
	v_fmamk_f16 v40, v1, 0x3b9c, v35
	v_fmac_f16_e32 v35, 0xbb9c, v1
	v_fmac_f16_e32 v32, 0xb8b4, v1
	;; [unrolled: 1-line block ×3, first 2 shown]
	v_add_f16_e32 v1, v18, v30
	v_add_f16_e32 v30, v25, v39
	;; [unrolled: 1-line block ×3, first 2 shown]
	v_fmac_f16_e32 v40, 0xb8b4, v0
	v_add_f16_e32 v18, v42, v43
	v_fmac_f16_e32 v35, 0x38b4, v0
	v_sub_f16_e32 v31, v33, v31
	v_fmac_f16_e32 v22, -0.5, v30
	v_add_f16_e32 v0, v2, v37
	v_fmamk_f16 v2, v3, 0x3b9c, v17
	v_fmac_f16_e32 v40, 0x34f2, v18
	v_fmac_f16_e32 v35, 0x34f2, v18
	v_sub_f16_e32 v18, v25, v37
	v_sub_f16_e32 v30, v39, v38
	v_fmac_f16_e32 v32, 0x34f2, v36
	v_fmac_f16_e32 v13, 0x34f2, v36
	v_fmamk_f16 v33, v31, 0xbb9c, v22
	v_sub_f16_e32 v25, v37, v25
	v_sub_f16_e32 v36, v38, v39
	v_fmac_f16_e32 v22, 0x3b9c, v31
	v_fmac_f16_e32 v17, 0xbb9c, v3
	v_add_f16_e32 v0, v0, v38
	v_fmac_f16_e32 v2, 0x38b4, v31
	v_add_f16_e32 v18, v18, v30
	;; [unrolled: 2-line block ×3, first 2 shown]
	v_fmac_f16_e32 v22, 0xb8b4, v3
	v_fmac_f16_e32 v17, 0xb8b4, v31
	v_add_f16_e32 v0, v0, v39
	v_fmac_f16_e32 v2, 0x34f2, v18
	v_fmac_f16_e32 v33, 0x34f2, v25
	;; [unrolled: 1-line block ×4, first 2 shown]
	v_pack_b32_f16 v0, v1, v0
	v_pack_b32_f16 v1, v32, v2
	;; [unrolled: 1-line block ×5, first 2 shown]
	ds_store_2addr_b32 v24, v0, v1 offset1:7
	ds_store_2addr_b32 v24, v2, v3 offset0:14 offset1:21
	ds_store_b32 v24, v18 offset:112
	global_wb scope:SCOPE_SE
	s_wait_dscnt 0x0
	s_barrier_signal -1
	s_barrier_wait -1
	global_inv scope:SCOPE_SE
	ds_load_2addr_b32 v[0:1], v23 offset1:35
	ds_load_2addr_b32 v[2:3], v23 offset0:70 offset1:105
	v_lshrrev_b32_e32 v18, 16, v34
	s_and_saveexec_b32 s1, s0
	s_cbranch_execz .LBB0_19
; %bb.18:
	ds_load_2addr_b32 v[13:14], v23 offset0:28 offset1:63
	ds_load_2addr_b32 v[11:12], v23 offset0:98 offset1:133
	s_wait_dscnt 0x1
	v_lshrrev_b32_e32 v17, 16, v13
	v_lshrrev_b32_e32 v15, 16, v14
	s_wait_dscnt 0x0
	v_lshrrev_b32_e32 v16, 16, v11
	v_lshrrev_b32_e32 v18, 16, v12
.LBB0_19:
	s_wait_alu 0xfffe
	s_or_b32 exec_lo, exec_lo, s1
	s_wait_dscnt 0x1
	v_lshrrev_b32_e32 v22, 16, v1
	s_wait_dscnt 0x0
	v_lshrrev_b32_e32 v24, 16, v2
	v_mul_f16_e32 v25, v28, v1
	v_lshrrev_b32_e32 v30, 16, v3
	v_mul_f16_e32 v31, v27, v2
	v_mul_f16_e32 v28, v28, v22
	;; [unrolled: 1-line block ×3, first 2 shown]
	v_fma_f16 v22, v7, v22, -v25
	v_mul_f16_e32 v25, v27, v24
	v_mul_f16_e32 v27, v29, v30
	v_lshrrev_b32_e32 v23, 16, v0
	v_fma_f16 v24, v8, v24, -v31
	v_fma_f16 v29, v9, v30, -v32
	v_fmac_f16_e32 v28, v7, v1
	v_fmac_f16_e32 v25, v8, v2
	;; [unrolled: 1-line block ×3, first 2 shown]
	v_sub_f16_e32 v1, v23, v24
	v_sub_f16_e32 v2, v22, v29
	s_delay_alu instid0(VALU_DEP_4) | instskip(NEXT) | instid1(VALU_DEP_4)
	v_sub_f16_e32 v3, v0, v25
	v_sub_f16_e32 v7, v28, v27
	s_delay_alu instid0(VALU_DEP_4) | instskip(NEXT) | instid1(VALU_DEP_4)
	v_fma_f16 v8, v23, 2.0, -v1
	v_fma_f16 v9, v22, 2.0, -v2
	s_delay_alu instid0(VALU_DEP_4) | instskip(NEXT) | instid1(VALU_DEP_4)
	v_fma_f16 v0, v0, 2.0, -v3
	v_fma_f16 v22, v28, 2.0, -v7
	v_add_f16_e32 v2, v3, v2
	s_delay_alu instid0(VALU_DEP_4) | instskip(SKIP_1) | instid1(VALU_DEP_4)
	v_sub_f16_e32 v9, v8, v9
	v_sub_f16_e32 v7, v1, v7
	v_sub_f16_e32 v22, v0, v22
	s_delay_alu instid0(VALU_DEP_4) | instskip(NEXT) | instid1(VALU_DEP_4)
	v_fma_f16 v3, v3, 2.0, -v2
	v_fma_f16 v8, v8, 2.0, -v9
	s_delay_alu instid0(VALU_DEP_4) | instskip(SKIP_2) | instid1(VALU_DEP_3)
	v_fma_f16 v1, v1, 2.0, -v7
	v_pack_b32_f16 v2, v2, v7
	v_fma_f16 v0, v0, 2.0, -v22
	v_pack_b32_f16 v1, v3, v1
	v_pack_b32_f16 v3, v22, v9
	s_delay_alu instid0(VALU_DEP_3)
	v_pack_b32_f16 v0, v0, v8
	ds_store_2addr_b32 v21, v0, v1 offset1:35
	ds_store_2addr_b32 v21, v3, v2 offset0:70 offset1:105
	s_and_saveexec_b32 s1, s0
	s_cbranch_execz .LBB0_21
; %bb.20:
	v_lshrrev_b32_e32 v0, 16, v5
	v_lshrrev_b32_e32 v1, 16, v4
	v_mul_f16_e32 v2, v26, v12
	v_mul_f16_e32 v3, v26, v18
	s_delay_alu instid0(VALU_DEP_4) | instskip(NEXT) | instid1(VALU_DEP_4)
	v_mul_f16_e32 v7, v0, v16
	v_mul_f16_e32 v8, v1, v14
	;; [unrolled: 1-line block ×4, first 2 shown]
	v_fma_f16 v2, v6, v18, -v2
	v_fmac_f16_e32 v3, v6, v12
	v_fmac_f16_e32 v7, v5, v11
	;; [unrolled: 1-line block ×3, first 2 shown]
	v_fma_f16 v0, v5, v16, -v0
	v_fma_f16 v4, v4, v15, -v8
	s_delay_alu instid0(VALU_DEP_4) | instskip(NEXT) | instid1(VALU_DEP_4)
	v_sub_f16_e32 v5, v13, v7
	v_sub_f16_e32 v3, v1, v3
	s_delay_alu instid0(VALU_DEP_4) | instskip(NEXT) | instid1(VALU_DEP_4)
	v_sub_f16_e32 v0, v17, v0
	v_sub_f16_e32 v2, v4, v2
	s_delay_alu instid0(VALU_DEP_4) | instskip(NEXT) | instid1(VALU_DEP_4)
	v_fma_f16 v6, v13, 2.0, -v5
	v_fma_f16 v1, v1, 2.0, -v3
	s_delay_alu instid0(VALU_DEP_4) | instskip(NEXT) | instid1(VALU_DEP_4)
	v_fma_f16 v7, v17, 2.0, -v0
	v_fma_f16 v4, v4, 2.0, -v2
	v_add_f16_e32 v2, v5, v2
	v_sub_f16_e32 v3, v0, v3
	v_sub_f16_e32 v1, v6, v1
	s_delay_alu instid0(VALU_DEP_4) | instskip(NEXT) | instid1(VALU_DEP_4)
	v_sub_f16_e32 v4, v7, v4
	v_fma_f16 v5, v5, 2.0, -v2
	s_delay_alu instid0(VALU_DEP_4) | instskip(NEXT) | instid1(VALU_DEP_4)
	v_fma_f16 v0, v0, 2.0, -v3
	v_fma_f16 v6, v6, 2.0, -v1
	v_pack_b32_f16 v2, v2, v3
	v_fma_f16 v7, v7, 2.0, -v4
	v_pack_b32_f16 v1, v1, v4
	v_pack_b32_f16 v0, v5, v0
	s_delay_alu instid0(VALU_DEP_3)
	v_pack_b32_f16 v3, v6, v7
	ds_store_2addr_b32 v21, v3, v0 offset0:28 offset1:63
	ds_store_2addr_b32 v21, v1, v2 offset0:98 offset1:133
.LBB0_21:
	s_wait_alu 0xfffe
	s_or_b32 exec_lo, exec_lo, s1
	global_wb scope:SCOPE_SE
	s_wait_dscnt 0x0
	s_barrier_signal -1
	s_barrier_wait -1
	global_inv scope:SCOPE_SE
	s_and_b32 exec_lo, exec_lo, vcc_lo
	s_cbranch_execz .LBB0_23
; %bb.22:
	s_clause 0x6
	global_load_b32 v0, v20, s[12:13]
	global_load_b32 v14, v20, s[12:13] offset:80
	global_load_b32 v15, v20, s[12:13] offset:160
	;; [unrolled: 1-line block ×6, first 2 shown]
	ds_load_b32 v16, v21
	ds_load_2addr_b32 v[1:2], v21 offset0:20 offset1:40
	ds_load_2addr_b32 v[5:6], v21 offset0:60 offset1:80
	ds_load_2addr_b32 v[7:8], v21 offset0:100 offset1:120
	v_mad_co_u64_u32 v[3:4], null, s6, v10, 0
	v_mad_co_u64_u32 v[11:12], null, s4, v19, 0
	s_mov_b32 s22, 0x1d41d41d
	s_mov_b32 s23, 0x3f7d41d4
	s_mul_u64 s[20:21], s[4:5], 0x50
	s_delay_alu instid0(VALU_DEP_1) | instskip(SKIP_1) | instid1(VALU_DEP_3)
	v_mov_b32_e32 v9, v12
	s_wait_dscnt 0x1
	v_mad_co_u64_u32 v[12:13], null, s7, v10, v[4:5]
	v_lshrrev_b32_e32 v13, 16, v1
	v_lshrrev_b32_e32 v17, 16, v2
	;; [unrolled: 1-line block ×3, first 2 shown]
	s_wait_dscnt 0x0
	v_lshrrev_b32_e32 v21, 16, v7
	v_lshrrev_b32_e32 v34, 16, v8
	v_mov_b32_e32 v4, v12
	v_mad_co_u64_u32 v[9:10], null, s5, v19, v[9:10]
	v_lshrrev_b32_e32 v10, 16, v16
	v_lshrrev_b32_e32 v19, 16, v5
	s_delay_alu instid0(VALU_DEP_3)
	v_mov_b32_e32 v12, v9
	s_wait_loadcnt 0x6
	v_lshrrev_b32_e32 v9, 16, v0
	s_wait_loadcnt 0x5
	v_lshrrev_b32_e32 v18, 16, v14
	;; [unrolled: 2-line block ×5, first 2 shown]
	v_mul_f16_e32 v29, v10, v9
	v_mul_f16_e32 v9, v16, v9
	;; [unrolled: 1-line block ×5, first 2 shown]
	v_fmac_f16_e32 v29, v16, v0
	v_fma_f16 v0, v0, v10, -v9
	v_fmac_f16_e32 v30, v1, v14
	v_fma_f16 v13, v14, v13, -v18
	v_mul_f16_e32 v16, v2, v25
	v_cvt_f32_f16_e32 v9, v29
	v_cvt_f32_f16_e32 v10, v0
	;; [unrolled: 1-line block ×3, first 2 shown]
	v_fmac_f16_e32 v31, v2, v15
	v_cvt_f32_f16_e32 v18, v13
	v_cvt_f64_f32_e32 v[0:1], v9
	v_cvt_f64_f32_e32 v[9:10], v10
	;; [unrolled: 1-line block ×3, first 2 shown]
	v_mul_f16_e32 v25, v19, v26
	v_cvt_f32_f16_e32 v30, v31
	v_fma_f16 v31, v15, v17, -v16
	v_cvt_f64_f32_e32 v[15:16], v18
	v_mul_f16_e32 v26, v5, v26
	v_mul_f16_e32 v29, v20, v27
	v_fmac_f16_e32 v25, v5, v22
	v_cvt_f64_f32_e32 v[17:18], v30
	v_cvt_f32_f16_e32 v5, v31
	s_wait_loadcnt 0x1
	v_lshrrev_b32_e32 v28, 16, v24
	v_mul_f16_e32 v27, v6, v27
	v_cvt_f32_f16_e32 v25, v25
	v_fma_f16 v22, v22, v19, -v26
	v_fmac_f16_e32 v29, v6, v23
	v_cvt_f64_f32_e32 v[5:6], v5
	v_mul_f16_e32 v2, v21, v28
	v_mul_f16_e32 v28, v7, v28
	v_fma_f16 v23, v23, v20, -v27
	v_cvt_f64_f32_e32 v[19:20], v25
	v_cvt_f32_f16_e32 v22, v22
	v_fmac_f16_e32 v2, v7, v24
	v_fma_f16 v7, v24, v21, -v28
	v_cvt_f32_f16_e32 v24, v29
	v_cvt_f32_f16_e32 v25, v23
	v_cvt_f64_f32_e32 v[21:22], v22
	v_cvt_f32_f16_e32 v27, v2
	v_lshlrev_b64_e32 v[2:3], 2, v[3:4]
	v_cvt_f64_f32_e32 v[23:24], v24
	v_cvt_f32_f16_e32 v7, v7
	v_cvt_f64_f32_e32 v[25:26], v25
	s_wait_loadcnt 0x0
	v_lshrrev_b32_e32 v35, 16, v33
	v_cvt_f64_f32_e32 v[27:28], v27
	v_add_co_u32 v4, vcc_lo, s8, v2
	v_cvt_f64_f32_e32 v[29:30], v7
	v_mul_f64_e32 v[0:1], s[22:23], v[0:1]
	v_mul_f64_e32 v[9:10], s[22:23], v[9:10]
	s_wait_alu 0xfffd
	v_add_co_ci_u32_e32 v7, vcc_lo, s9, v3, vcc_lo
	v_mul_f64_e32 v[2:3], s[22:23], v[13:14]
	v_mul_f16_e32 v32, v34, v35
	v_mul_f64_e32 v[13:14], s[22:23], v[15:16]
	s_delay_alu instid0(VALU_DEP_2) | instskip(NEXT) | instid1(VALU_DEP_1)
	v_fmac_f16_e32 v32, v8, v33
	v_cvt_f32_f16_e32 v31, v32
	s_delay_alu instid0(VALU_DEP_1)
	v_cvt_f64_f32_e32 v[31:32], v31
	v_mul_f64_e32 v[21:22], s[22:23], v[21:22]
	v_mul_f64_e32 v[23:24], s[22:23], v[23:24]
	;; [unrolled: 1-line block ×5, first 2 shown]
	v_bfe_u32 v37, v1, 20, 11
	v_and_or_b32 v0, 0x1ff, v1, v0
	v_and_or_b32 v9, 0x1ff, v10, v9
	v_lshrrev_b32_e32 v38, 8, v10
	v_and_or_b32 v2, 0x1ff, v3, v2
	v_sub_nc_u32_e32 v58, 0x3f1, v37
	v_add_nc_u32_e32 v37, 0xfffffc10, v37
	v_lshlrev_b64_e32 v[11:12], 2, v[11:12]
	v_and_or_b32 v13, 0x1ff, v14, v13
	v_bfe_u32 v39, v10, 20, 11
	v_lshrrev_b32_e32 v40, 8, v3
	v_bfe_u32 v41, v3, 20, 11
	v_bfe_u32 v43, v14, 20, 11
	v_add_co_u32 v11, vcc_lo, v4, v11
	s_wait_alu 0xfffd
	v_add_co_ci_u32_e32 v12, vcc_lo, v7, v12, vcc_lo
	v_mul_f16_e32 v4, v8, v35
	v_mul_f64_e32 v[7:8], s[22:23], v[17:18]
	v_add_co_u32 v15, vcc_lo, v11, s20
	v_mul_f64_e32 v[17:18], s[22:23], v[19:20]
	s_delay_alu instid0(VALU_DEP_4)
	v_fma_f16 v33, v33, v34, -v4
	v_mul_f64_e32 v[4:5], s[22:23], v[5:6]
	s_wait_alu 0xfffd
	v_add_co_ci_u32_e32 v16, vcc_lo, s21, v12, vcc_lo
	v_add_co_u32 v19, vcc_lo, v15, s20
	v_cvt_f32_f16_e32 v6, v33
	s_wait_alu 0xfffd
	s_delay_alu instid0(VALU_DEP_3) | instskip(NEXT) | instid1(VALU_DEP_3)
	v_add_co_ci_u32_e32 v20, vcc_lo, s21, v16, vcc_lo
	v_add_co_u32 v33, vcc_lo, v19, s20
	v_and_or_b32 v21, 0x1ff, v22, v21
	s_wait_alu 0xfffd
	s_delay_alu instid0(VALU_DEP_3)
	v_add_co_ci_u32_e32 v34, vcc_lo, s21, v20, vcc_lo
	v_cmp_ne_u32_e32 vcc_lo, 0, v0
	v_and_or_b32 v23, 0x1ff, v24, v23
	v_and_or_b32 v25, 0x1ff, v26, v25
	;; [unrolled: 1-line block ×3, first 2 shown]
	v_cvt_f64_f32_e32 v[35:36], v6
	s_wait_alu 0xfffd
	v_cndmask_b32_e64 v0, 0, 1, vcc_lo
	v_cmp_ne_u32_e32 vcc_lo, 0, v9
	v_lshrrev_b32_e32 v6, 8, v1
	v_and_or_b32 v29, 0x1ff, v30, v29
	v_sub_nc_u32_e32 v59, 0x3f1, v39
	v_lshrrev_b32_e32 v42, 8, v14
	s_wait_alu 0xfffd
	v_cndmask_b32_e64 v9, 0, 1, vcc_lo
	v_cmp_ne_u32_e32 vcc_lo, 0, v2
	v_and_or_b32 v0, 0xffe, v6, v0
	v_sub_nc_u32_e32 v60, 0x3f1, v41
	v_sub_nc_u32_e32 v61, 0x3f1, v43
	v_and_or_b32 v9, 0xffe, v38, v9
	s_wait_alu 0xfffd
	v_cndmask_b32_e64 v2, 0, 1, vcc_lo
	v_cmp_ne_u32_e32 vcc_lo, 0, v13
	v_med3_i32 v6, v58, 0, 13
	v_and_or_b32 v7, 0x1ff, v8, v7
	v_bfe_u32 v45, v8, 20, 11
	v_med3_i32 v38, v59, 0, 13
	s_wait_alu 0xfffd
	v_cndmask_b32_e64 v13, 0, 1, vcc_lo
	v_and_or_b32 v17, 0x1ff, v18, v17
	v_and_or_b32 v4, 0x1ff, v5, v4
	v_cmp_ne_u32_e32 vcc_lo, 0, v7
	v_bfe_u32 v47, v5, 20, 11
	v_and_or_b32 v2, 0xffe, v40, v2
	v_or_b32_e32 v58, 0x1000, v0
	v_lshl_or_b32 v59, v37, 12, v0
	s_wait_alu 0xfffd
	v_cndmask_b32_e64 v7, 0, 1, vcc_lo
	v_cmp_ne_u32_e32 vcc_lo, 0, v4
	v_add_nc_u32_e32 v39, 0xfffffc10, v39
	v_lshrrev_b32_e32 v44, 8, v8
	v_lshrrev_b32_e32 v46, 8, v5
	v_bfe_u32 v49, v18, 20, 11
	s_wait_alu 0xfffd
	v_cndmask_b32_e64 v4, 0, 1, vcc_lo
	v_cmp_ne_u32_e32 vcc_lo, 0, v17
	v_bfe_u32 v51, v22, 20, 11
	v_sub_nc_u32_e32 v62, 0x3f1, v45
	v_sub_nc_u32_e32 v63, 0x3f1, v47
	v_med3_i32 v40, v60, 0, 13
	s_wait_alu 0xfffd
	v_cndmask_b32_e64 v17, 0, 1, vcc_lo
	v_cmp_ne_u32_e32 vcc_lo, 0, v21
	v_and_or_b32 v13, 0xffe, v42, v13
	v_med3_i32 v42, v61, 0, 13
	v_or_b32_e32 v60, 0x1000, v9
	v_lshl_or_b32 v61, v39, 12, v9
	s_wait_alu 0xfffd
	v_cndmask_b32_e64 v21, 0, 1, vcc_lo
	v_cmp_ne_u32_e32 vcc_lo, 0, v23
	v_add_nc_u32_e32 v41, 0xfffffc10, v41
	v_lshrrev_b32_e32 v48, 8, v18
	v_lshrrev_b32_e32 v50, 8, v22
	v_bfe_u32 v53, v24, 20, 11
	s_wait_alu 0xfffd
	v_cndmask_b32_e64 v23, 0, 1, vcc_lo
	v_cmp_ne_u32_e32 vcc_lo, 0, v25
	v_bfe_u32 v55, v26, 20, 11
	v_sub_nc_u32_e32 v64, 0x3f1, v49
	v_sub_nc_u32_e32 v65, 0x3f1, v51
	v_and_or_b32 v7, 0xffe, v44, v7
	s_wait_alu 0xfffd
	v_cndmask_b32_e64 v25, 0, 1, vcc_lo
	v_cmp_ne_u32_e32 vcc_lo, 0, v27
	v_med3_i32 v44, v62, 0, 13
	v_and_or_b32 v4, 0xffe, v46, v4
	v_med3_i32 v46, v63, 0, 13
	v_or_b32_e32 v62, 0x1000, v2
	s_wait_alu 0xfffd
	v_cndmask_b32_e64 v27, 0, 1, vcc_lo
	v_cmp_ne_u32_e32 vcc_lo, 0, v29
	v_lshl_or_b32 v63, v41, 12, v2
	v_add_nc_u32_e32 v43, 0xfffffc10, v43
	v_lshrrev_b32_e32 v52, 8, v24
	v_lshrrev_b32_e32 v54, 8, v26
	s_wait_alu 0xfffd
	v_cndmask_b32_e64 v29, 0, 1, vcc_lo
	v_cmp_ne_u32_e32 vcc_lo, 0, v0
	v_bfe_u32 v57, v28, 20, 11
	v_sub_nc_u32_e32 v66, 0x3f1, v53
	v_sub_nc_u32_e32 v67, 0x3f1, v55
	v_and_or_b32 v17, 0xffe, v48, v17
	s_wait_alu 0xfffd
	v_cndmask_b32_e64 v0, 0, 1, vcc_lo
	v_cmp_ne_u32_e32 vcc_lo, 0, v9
	v_med3_i32 v48, v64, 0, 13
	v_and_or_b32 v21, 0xffe, v50, v21
	v_med3_i32 v50, v65, 0, 13
	v_or_b32_e32 v64, 0x1000, v13
	s_wait_alu 0xfffd
	v_cndmask_b32_e64 v9, 0, 1, vcc_lo
	v_cmp_ne_u32_e32 vcc_lo, 0, v2
	v_lshl_or_b32 v65, v43, 12, v13
	v_add_nc_u32_e32 v45, 0xfffffc10, v45
	v_lshrrev_b32_e32 v56, 8, v28
	v_sub_nc_u32_e32 v68, 0x3f1, v57
	s_wait_alu 0xfffd
	v_cndmask_b32_e64 v2, 0, 1, vcc_lo
	v_cmp_ne_u32_e32 vcc_lo, 0, v13
	v_and_or_b32 v23, 0xffe, v52, v23
	v_med3_i32 v52, v66, 0, 13
	v_and_or_b32 v25, 0xffe, v54, v25
	v_med3_i32 v54, v67, 0, 13
	s_wait_alu 0xfffd
	v_cndmask_b32_e64 v13, 0, 1, vcc_lo
	v_cmp_ne_u32_e32 vcc_lo, 0, v7
	v_or_b32_e32 v66, 0x1000, v7
	v_lshl_or_b32 v67, v45, 12, v7
	v_add_nc_u32_e32 v47, 0xfffffc10, v47
	v_and_or_b32 v27, 0xffe, v56, v27
	s_wait_alu 0xfffd
	v_cndmask_b32_e64 v7, 0, 1, vcc_lo
	v_cmp_ne_u32_e32 vcc_lo, 0, v4
	v_med3_i32 v56, v68, 0, 13
	v_or_b32_e32 v68, 0x1000, v4
	v_lshl_or_b32 v69, v47, 12, v4
	v_add_nc_u32_e32 v49, 0xfffffc10, v49
	s_wait_alu 0xfffd
	v_cndmask_b32_e64 v4, 0, 1, vcc_lo
	v_cmp_ne_u32_e32 vcc_lo, 0, v17
	v_or_b32_e32 v70, 0x1000, v17
	v_or_b32_e32 v72, 0x1000, v21
	v_lshl_or_b32 v71, v49, 12, v17
	v_add_nc_u32_e32 v51, 0xfffffc10, v51
	s_wait_alu 0xfffd
	v_cndmask_b32_e64 v17, 0, 1, vcc_lo
	v_cmp_ne_u32_e32 vcc_lo, 0, v21
	v_lshrrev_b32_e32 v80, v6, v58
	v_or_b32_e32 v74, 0x1000, v23
	v_lshl_or_b32 v73, v51, 12, v21
	v_add_nc_u32_e32 v53, 0xfffffc10, v53
	s_wait_alu 0xfffd
	v_cndmask_b32_e64 v21, 0, 1, vcc_lo
	v_cmp_ne_u32_e32 vcc_lo, 0, v23
	v_lshrrev_b32_e32 v81, v38, v60
	v_lshl_or_b32 v7, v7, 9, 0x7c00
	v_lshl_or_b32 v75, v53, 12, v23
	v_add_nc_u32_e32 v55, 0xfffffc10, v55
	s_wait_alu 0xfffd
	v_cndmask_b32_e64 v23, 0, 1, vcc_lo
	v_cmp_ne_u32_e32 vcc_lo, 0, v25
	v_lshlrev_b32_e32 v6, v6, v80
	v_or_b32_e32 v76, 0x1000, v25
	v_lshl_or_b32 v77, v55, 12, v25
	v_lshrrev_b32_e32 v82, v40, v62
	s_wait_alu 0xfffd
	v_cndmask_b32_e64 v25, 0, 1, vcc_lo
	v_lshl_or_b32 v23, v23, 9, 0x7c00
	v_cmp_ne_u32_e32 vcc_lo, v6, v58
	v_lshlrev_b32_e32 v38, v38, v81
	v_lshl_or_b32 v9, v9, 9, 0x7c00
	v_lshrrev_b32_e32 v83, v42, v64
	v_lshlrev_b32_e32 v40, v40, v82
	s_wait_alu 0xfffd
	v_cndmask_b32_e64 v58, 0, 1, vcc_lo
	v_cmp_ne_u32_e32 vcc_lo, v38, v60
	v_lshrrev_b32_e32 v84, v44, v66
	v_lshl_or_b32 v17, v17, 9, 0x7c00
	v_lshlrev_b32_e32 v42, v42, v83
	v_lshl_or_b32 v13, v13, 9, 0x7c00
	s_wait_alu 0xfffd
	v_cndmask_b32_e64 v38, 0, 1, vcc_lo
	v_cmp_ne_u32_e32 vcc_lo, v40, v62
	v_lshrrev_b32_e32 v85, v46, v68
	v_lshlrev_b32_e32 v44, v44, v84
	v_lshrrev_b32_e32 v86, v48, v70
	v_lshrrev_b32_e32 v87, v50, v72
	s_wait_alu 0xfffd
	v_cndmask_b32_e64 v40, 0, 1, vcc_lo
	v_cmp_ne_u32_e32 vcc_lo, v42, v64
	v_lshlrev_b32_e32 v46, v46, v85
	v_lshl_or_b32 v21, v21, 9, 0x7c00
	v_lshlrev_b32_e32 v48, v48, v86
	v_lshrrev_b32_e32 v88, v52, v74
	s_wait_alu 0xfffd
	v_cndmask_b32_e64 v42, 0, 1, vcc_lo
	v_cmp_ne_u32_e32 vcc_lo, v44, v66
	v_lshlrev_b32_e32 v50, v50, v87
	v_or_b32_e32 v78, 0x1000, v27
	v_lshrrev_b32_e32 v89, v54, v76
	v_lshl_or_b32 v25, v25, 9, 0x7c00
	s_wait_alu 0xfffd
	v_cndmask_b32_e64 v44, 0, 1, vcc_lo
	v_cmp_ne_u32_e32 vcc_lo, v46, v68
	v_lshlrev_b32_e32 v52, v52, v88
	v_lshrrev_b32_e32 v6, v56, v78
	v_lshlrev_b32_e32 v54, v54, v89
	v_or_b32_e32 v58, v80, v58
	s_wait_alu 0xfffd
	v_cndmask_b32_e64 v46, 0, 1, vcc_lo
	v_cmp_ne_u32_e32 vcc_lo, v48, v70
	v_lshlrev_b32_e32 v56, v56, v6
	v_or_b32_e32 v38, v81, v38
	v_or_b32_e32 v40, v82, v40
	;; [unrolled: 1-line block ×3, first 2 shown]
	s_wait_alu 0xfffd
	v_cndmask_b32_e64 v48, 0, 1, vcc_lo
	v_cmp_ne_u32_e32 vcc_lo, v50, v72
	v_or_b32_e32 v44, v84, v44
	v_or_b32_e32 v46, v85, v46
	v_lshl_or_b32 v0, v0, 9, 0x7c00
	v_or_b32_e32 v48, v86, v48
	s_wait_alu 0xfffd
	v_cndmask_b32_e64 v50, 0, 1, vcc_lo
	v_cmp_ne_u32_e32 vcc_lo, v52, v74
	v_lshl_or_b32 v2, v2, 9, 0x7c00
	v_lshl_or_b32 v4, v4, 9, 0x7c00
	v_lshrrev_b32_e32 v5, 16, v5
	v_or_b32_e32 v50, v87, v50
	s_wait_alu 0xfffd
	v_cndmask_b32_e64 v52, 0, 1, vcc_lo
	v_cmp_ne_u32_e32 vcc_lo, v54, v76
	v_lshrrev_b32_e32 v18, 16, v18
	v_mul_f64_e32 v[31:32], s[22:23], v[31:32]
	v_lshrrev_b32_e32 v1, 16, v1
	v_or_b32_e32 v52, v88, v52
	s_wait_alu 0xfffd
	v_cndmask_b32_e64 v54, 0, 1, vcc_lo
	v_cmp_ne_u32_e32 vcc_lo, v56, v78
	v_lshrrev_b32_e32 v3, 16, v3
	v_lshrrev_b32_e32 v10, 16, v10
	;; [unrolled: 1-line block ×3, first 2 shown]
	v_or_b32_e32 v54, v89, v54
	s_wait_alu 0xfffd
	v_cndmask_b32_e64 v56, 0, 1, vcc_lo
	v_cmp_gt_i32_e32 vcc_lo, 1, v37
	v_lshrrev_b32_e32 v8, 16, v8
	v_lshrrev_b32_e32 v22, 16, v22
	;; [unrolled: 1-line block ×3, first 2 shown]
	v_or_b32_e32 v6, v6, v56
	s_wait_alu 0xfffd
	v_cndmask_b32_e32 v56, v59, v58, vcc_lo
	v_cmp_gt_i32_e32 vcc_lo, 1, v39
	v_lshrrev_b32_e32 v26, 16, v26
	s_delay_alu instid0(VALU_DEP_3)
	v_and_b32_e32 v58, 7, v56
	s_wait_alu 0xfffd
	v_cndmask_b32_e32 v38, v61, v38, vcc_lo
	v_cmp_gt_i32_e32 vcc_lo, 1, v41
	v_lshrrev_b32_e32 v56, 2, v56
	v_cmp_eq_u32_e64 s0, 3, v58
	s_wait_alu 0xfffd
	v_cndmask_b32_e32 v40, v63, v40, vcc_lo
	v_cmp_gt_i32_e32 vcc_lo, 1, v43
	s_delay_alu instid0(VALU_DEP_2)
	v_and_b32_e32 v60, 7, v40
	s_wait_alu 0xfffd
	v_cndmask_b32_e32 v42, v65, v42, vcc_lo
	v_cmp_gt_i32_e32 vcc_lo, 1, v45
	v_lshrrev_b32_e32 v40, 2, v40
	v_cmp_lt_i32_e64 s3, 5, v60
	v_cmp_eq_u32_e64 s4, 3, v60
	s_wait_alu 0xfffd
	v_cndmask_b32_e32 v44, v67, v44, vcc_lo
	v_cmp_gt_i32_e32 vcc_lo, 1, v47
	s_delay_alu instid0(VALU_DEP_2)
	v_and_b32_e32 v62, 7, v44
	s_wait_alu 0xfffd
	v_cndmask_b32_e32 v46, v69, v46, vcc_lo
	v_cmp_gt_i32_e32 vcc_lo, 1, v49
	v_lshrrev_b32_e32 v44, 2, v44
	v_cmp_lt_i32_e64 s7, 5, v62
	;; [unrolled: 11-line block ×3, first 2 shown]
	v_cmp_eq_u32_e64 s12, 3, v64
	s_wait_alu 0xfffd
	v_cndmask_b32_e32 v52, v75, v52, vcc_lo
	v_cmp_gt_i32_e32 vcc_lo, 1, v55
	v_add_nc_u32_e32 v57, 0xfffffc10, v57
	s_delay_alu instid0(VALU_DEP_3) | instskip(SKIP_2) | instid1(VALU_DEP_3)
	v_and_b32_e32 v66, 7, v52
	s_wait_alu 0xfffd
	v_cndmask_b32_e32 v54, v77, v54, vcc_lo
	v_lshl_or_b32 v79, v57, 12, v27
	v_cmp_gt_i32_e32 vcc_lo, 1, v57
	v_lshrrev_b32_e32 v52, 2, v52
	v_cmp_lt_i32_e64 s15, 5, v66
	v_cmp_eq_u32_e64 s16, 3, v66
	s_wait_alu 0xfffd
	v_cndmask_b32_e32 v6, v79, v6, vcc_lo
	v_cmp_lt_i32_e32 vcc_lo, 5, v58
	s_or_b32 vcc_lo, s0, vcc_lo
	s_wait_alu 0xfffe
	v_add_co_ci_u32_e32 v56, vcc_lo, 0, v56, vcc_lo
	v_and_b32_e32 v59, 7, v38
	v_lshrrev_b32_e32 v38, 2, v38
	s_delay_alu instid0(VALU_DEP_2) | instskip(SKIP_1) | instid1(VALU_DEP_1)
	v_cmp_lt_i32_e64 s1, 5, v59
	v_cmp_eq_u32_e64 s2, 3, v59
	s_or_b32 vcc_lo, s2, s1
	s_wait_alu 0xfffe
	v_add_co_ci_u32_e32 v38, vcc_lo, 0, v38, vcc_lo
	s_or_b32 vcc_lo, s4, s3
	s_wait_alu 0xfffe
	v_add_co_ci_u32_e32 v40, vcc_lo, 0, v40, vcc_lo
	v_and_b32_e32 v61, 7, v42
	v_lshrrev_b32_e32 v42, 2, v42
	s_delay_alu instid0(VALU_DEP_2) | instskip(SKIP_1) | instid1(VALU_DEP_1)
	v_cmp_lt_i32_e64 s5, 5, v61
	v_cmp_eq_u32_e64 s6, 3, v61
	s_or_b32 vcc_lo, s6, s5
	s_wait_alu 0xfffe
	v_add_co_ci_u32_e32 v42, vcc_lo, 0, v42, vcc_lo
	s_or_b32 vcc_lo, s8, s7
	;; [unrolled: 11-line block ×4, first 2 shown]
	s_wait_alu 0xfffe
	v_add_co_ci_u32_e32 v52, vcc_lo, 0, v52, vcc_lo
	v_and_b32_e32 v67, 7, v54
	v_lshrrev_b32_e32 v54, 2, v54
	s_delay_alu instid0(VALU_DEP_2) | instskip(SKIP_1) | instid1(VALU_DEP_1)
	v_cmp_lt_i32_e64 s17, 5, v67
	v_cmp_eq_u32_e64 s18, 3, v67
	s_or_b32 vcc_lo, s18, s17
	s_wait_alu 0xfffe
	v_add_co_ci_u32_e32 v54, vcc_lo, 0, v54, vcc_lo
	v_cmp_gt_i32_e32 vcc_lo, 31, v37
	s_wait_alu 0xfffd
	v_cndmask_b32_e32 v56, 0x7c00, v56, vcc_lo
	v_cmp_gt_i32_e32 vcc_lo, 31, v39
	s_wait_alu 0xfffd
	v_cndmask_b32_e32 v38, 0x7c00, v38, vcc_lo
	;; [unrolled: 3-line block ×10, first 2 shown]
	v_cmp_eq_u32_e32 vcc_lo, 0x40f, v37
	s_wait_alu 0xfffd
	v_cndmask_b32_e32 v0, v56, v0, vcc_lo
	v_cmp_eq_u32_e32 vcc_lo, 0x40f, v39
	s_wait_alu 0xfffd
	v_cndmask_b32_e32 v9, v38, v9, vcc_lo
	;; [unrolled: 3-line block ×3, first 2 shown]
	v_cmp_eq_u32_e32 vcc_lo, 0x40f, v43
	s_delay_alu instid0(VALU_DEP_2) | instskip(SKIP_3) | instid1(VALU_DEP_3)
	v_and_or_b32 v2, 0x8000, v3, v2
	s_wait_alu 0xfffd
	v_cndmask_b32_e32 v13, v42, v13, vcc_lo
	v_cmp_eq_u32_e32 vcc_lo, 0x40f, v45
	v_and_b32_e32 v2, 0xffff, v2
	s_delay_alu instid0(VALU_DEP_3)
	v_and_or_b32 v3, 0x8000, v14, v13
	s_wait_alu 0xfffd
	v_cndmask_b32_e32 v7, v44, v7, vcc_lo
	v_cmp_eq_u32_e32 vcc_lo, 0x40f, v47
	v_lshrrev_b32_e32 v13, 8, v32
	v_bfe_u32 v14, v32, 20, 11
	s_delay_alu instid0(VALU_DEP_4) | instskip(SKIP_3) | instid1(VALU_DEP_3)
	v_and_or_b32 v7, 0x8000, v8, v7
	s_wait_alu 0xfffd
	v_cndmask_b32_e32 v4, v46, v4, vcc_lo
	v_cmp_eq_u32_e32 vcc_lo, 0x40f, v49
	v_and_b32_e32 v7, 0xffff, v7
	s_delay_alu instid0(VALU_DEP_3)
	v_and_or_b32 v4, 0x8000, v5, v4
	s_wait_alu 0xfffd
	v_cndmask_b32_e32 v17, v48, v17, vcc_lo
	v_cmp_eq_u32_e32 vcc_lo, 0x40f, v51
	v_and_b32_e32 v68, 7, v6
	v_lshl_or_b32 v7, v4, 16, v7
	s_delay_alu instid0(VALU_DEP_4)
	v_and_or_b32 v5, 0x8000, v18, v17
	s_wait_alu 0xfffd
	v_cndmask_b32_e32 v21, v50, v21, vcc_lo
	v_cmp_eq_u32_e32 vcc_lo, 0x40f, v53
	v_bfe_u32 v4, v30, 20, 11
	v_cmp_eq_u32_e64 s0, 3, v68
	v_and_b32_e32 v5, 0xffff, v5
	v_and_or_b32 v0, 0x8000, v1, v0
	s_wait_alu 0xfffd
	v_cndmask_b32_e32 v23, v52, v23, vcc_lo
	v_cmp_eq_u32_e32 vcc_lo, 0x40f, v55
	v_and_or_b32 v1, 0x8000, v10, v9
	v_and_or_b32 v8, 0x8000, v22, v21
	v_and_b32_e32 v0, 0xffff, v0
	v_sub_nc_u32_e32 v9, 0x3f1, v4
	s_wait_alu 0xfffd
	v_cndmask_b32_e32 v25, v54, v25, vcc_lo
	v_cmp_lt_i32_e32 vcc_lo, 5, v68
	v_lshl_or_b32 v8, v8, 16, v5
	v_lshl_or_b32 v0, v1, 16, v0
	v_lshl_or_b32 v1, v3, 16, v2
	v_and_or_b32 v2, 0x8000, v24, v23
	v_and_or_b32 v5, 0x8000, v26, v25
	s_clause 0x1
	global_store_b32 v[11:12], v0, off
	global_store_b32 v[15:16], v1, off
	v_lshrrev_b32_e32 v3, 8, v30
	v_and_b32_e32 v2, 0xffff, v2
	v_mul_f64_e32 v[0:1], s[22:23], v[35:36]
	s_or_b32 vcc_lo, s0, vcc_lo
	v_and_or_b32 v12, 0x1ff, v32, v31
	v_and_or_b32 v3, 0xffe, v3, v29
	v_lshl_or_b32 v10, v5, 16, v2
	v_lshrrev_b32_e32 v2, 2, v6
	v_med3_i32 v6, v9, 0, 13
	v_add_nc_u32_e32 v4, 0xfffffc10, v4
	v_or_b32_e32 v5, 0x1000, v3
	s_wait_alu 0xfffe
	v_add_co_ci_u32_e32 v2, vcc_lo, 0, v2, vcc_lo
	v_cmp_ne_u32_e32 vcc_lo, 0, v27
	s_delay_alu instid0(VALU_DEP_3) | instskip(SKIP_3) | instid1(VALU_DEP_3)
	v_lshrrev_b32_e32 v11, v6, v5
	s_wait_alu 0xfffd
	v_cndmask_b32_e64 v9, 0, 1, vcc_lo
	v_cmp_gt_i32_e32 vcc_lo, 31, v57
	v_lshlrev_b32_e32 v6, v6, v11
	s_delay_alu instid0(VALU_DEP_3)
	v_lshl_or_b32 v9, v9, 9, 0x7c00
	s_wait_alu 0xfffd
	v_cndmask_b32_e32 v2, 0x7c00, v2, vcc_lo
	v_cmp_ne_u32_e32 vcc_lo, 0, v12
	s_wait_alu 0xfffd
	v_cndmask_b32_e64 v12, 0, 1, vcc_lo
	v_cmp_ne_u32_e32 vcc_lo, v6, v5
	s_delay_alu instid0(VALU_DEP_2)
	v_and_or_b32 v6, 0xffe, v13, v12
	s_wait_alu 0xfffd
	v_cndmask_b32_e64 v5, 0, 1, vcc_lo
	v_sub_nc_u32_e32 v12, 0x3f1, v14
	v_cmp_eq_u32_e32 vcc_lo, 0x40f, v57
	v_and_or_b32 v0, 0x1ff, v1, v0
	v_lshrrev_b32_e32 v13, 16, v28
	v_or_b32_e32 v5, v11, v5
	v_or_b32_e32 v11, 0x1000, v6
	s_wait_alu 0xfffd
	v_cndmask_b32_e32 v2, v2, v9, vcc_lo
	v_lshl_or_b32 v9, v4, 12, v3
	v_med3_i32 v12, v12, 0, 13
	v_cmp_gt_i32_e32 vcc_lo, 1, v4
	v_lshrrev_b32_e32 v15, 8, v1
	v_bfe_u32 v16, v1, 20, 11
	v_and_or_b32 v2, 0x8000, v13, v2
	s_wait_alu 0xfffd
	v_dual_cndmask_b32 v5, v9, v5 :: v_dual_add_nc_u32 v14, 0xfffffc10, v14
	v_lshrrev_b32_e32 v9, v12, v11
	v_cmp_ne_u32_e32 vcc_lo, 0, v0
	v_sub_nc_u32_e32 v13, 0x3f1, v16
	v_and_b32_e32 v2, 0xffff, v2
	v_and_b32_e32 v17, 7, v5
	v_lshlrev_b32_e32 v12, v12, v9
	s_wait_alu 0xfffd
	v_cndmask_b32_e64 v0, 0, 1, vcc_lo
	v_lshrrev_b32_e32 v5, 2, v5
	v_med3_i32 v13, v13, 0, 13
	v_cmp_lt_i32_e32 vcc_lo, 5, v17
	v_cmp_ne_u32_e64 s0, v12, v11
	v_and_or_b32 v0, 0xffe, v15, v0
	v_lshl_or_b32 v15, v14, 12, v6
	s_wait_alu 0xf1ff
	s_delay_alu instid0(VALU_DEP_3) | instskip(SKIP_2) | instid1(VALU_DEP_3)
	v_cndmask_b32_e64 v11, 0, 1, s0
	v_cmp_eq_u32_e64 s0, 3, v17
	v_or_b32_e32 v12, 0x1000, v0
	v_or_b32_e32 v9, v9, v11
	s_delay_alu instid0(VALU_DEP_3) | instskip(NEXT) | instid1(VALU_DEP_2)
	s_or_b32 vcc_lo, s0, vcc_lo
	v_lshrrev_b32_e32 v11, v13, v12
	s_wait_alu 0xfffe
	v_add_co_ci_u32_e32 v5, vcc_lo, 0, v5, vcc_lo
	v_cmp_gt_i32_e32 vcc_lo, 1, v14
	s_delay_alu instid0(VALU_DEP_3) | instskip(SKIP_3) | instid1(VALU_DEP_2)
	v_lshlrev_b32_e32 v13, v13, v11
	s_wait_alu 0xfffd
	v_cndmask_b32_e32 v9, v15, v9, vcc_lo
	v_cmp_ne_u32_e32 vcc_lo, 0, v3
	v_and_b32_e32 v15, 7, v9
	s_wait_alu 0xfffd
	v_cndmask_b32_e64 v3, 0, 1, vcc_lo
	v_cmp_ne_u32_e32 vcc_lo, v13, v12
	v_add_nc_u32_e32 v13, 0xfffffc10, v16
	v_cmp_eq_u32_e64 s0, 3, v15
	s_delay_alu instid0(VALU_DEP_4) | instskip(SKIP_4) | instid1(VALU_DEP_3)
	v_lshl_or_b32 v3, v3, 9, 0x7c00
	s_wait_alu 0xfffd
	v_cndmask_b32_e64 v12, 0, 1, vcc_lo
	v_cmp_gt_i32_e32 vcc_lo, 31, v4
	v_cmp_gt_i32_e64 s1, 1, v13
	v_or_b32_e32 v11, v11, v12
	v_lshl_or_b32 v12, v13, 12, v0
	s_wait_alu 0xfffd
	v_cndmask_b32_e32 v5, 0x7c00, v5, vcc_lo
	v_cmp_lt_i32_e32 vcc_lo, 5, v15
	s_wait_alu 0xf1ff
	v_cndmask_b32_e64 v11, v12, v11, s1
	v_cmp_eq_u32_e64 s1, 0x40f, v4
	v_lshrrev_b32_e32 v4, 2, v9
	s_or_b32 vcc_lo, s0, vcc_lo
	s_delay_alu instid0(VALU_DEP_3) | instskip(NEXT) | instid1(VALU_DEP_3)
	v_and_b32_e32 v9, 7, v11
	v_cndmask_b32_e64 v3, v5, v3, s1
	s_wait_alu 0xfffe
	v_add_co_ci_u32_e32 v4, vcc_lo, 0, v4, vcc_lo
	v_cmp_ne_u32_e32 vcc_lo, 0, v6
	v_cmp_eq_u32_e64 s0, 3, v9
	v_cmp_gt_i32_e64 s1, 31, v14
	v_lshrrev_b32_e32 v5, 16, v30
	s_wait_alu 0xfffd
	v_cndmask_b32_e64 v6, 0, 1, vcc_lo
	v_cmp_lt_i32_e32 vcc_lo, 5, v9
	v_lshrrev_b32_e32 v9, 2, v11
	s_wait_alu 0xf1ff
	v_cndmask_b32_e64 v4, 0x7c00, v4, s1
	v_and_or_b32 v3, 0x8000, v5, v3
	v_lshl_or_b32 v6, v6, 9, 0x7c00
	s_or_b32 vcc_lo, s0, vcc_lo
	s_wait_alu 0xfffe
	v_add_co_ci_u32_e32 v9, vcc_lo, 0, v9, vcc_lo
	v_cmp_ne_u32_e32 vcc_lo, 0, v0
	s_wait_alu 0xfffd
	v_cndmask_b32_e64 v0, 0, 1, vcc_lo
	v_cmp_eq_u32_e32 vcc_lo, 0x40f, v14
	s_delay_alu instid0(VALU_DEP_2)
	v_lshl_or_b32 v0, v0, 9, 0x7c00
	s_wait_alu 0xfffd
	v_cndmask_b32_e32 v4, v4, v6, vcc_lo
	v_cmp_gt_i32_e32 vcc_lo, 31, v13
	v_lshrrev_b32_e32 v6, 16, v32
	s_wait_alu 0xfffd
	v_cndmask_b32_e32 v9, 0x7c00, v9, vcc_lo
	v_cmp_eq_u32_e32 vcc_lo, 0x40f, v13
	s_delay_alu instid0(VALU_DEP_3)
	v_and_or_b32 v4, 0x8000, v6, v4
	v_lshrrev_b32_e32 v6, 16, v1
	s_wait_alu 0xfffd
	v_cndmask_b32_e32 v5, v9, v0, vcc_lo
	v_add_co_u32 v0, vcc_lo, v33, s20
	s_wait_alu 0xfffd
	v_add_co_ci_u32_e32 v1, vcc_lo, s21, v34, vcc_lo
	v_lshl_or_b32 v9, v3, 16, v2
	v_and_or_b32 v5, 0x8000, v6, v5
	v_and_b32_e32 v4, 0xffff, v4
	v_add_co_u32 v2, vcc_lo, v0, s20
	s_wait_alu 0xfffd
	v_add_co_ci_u32_e32 v3, vcc_lo, s21, v1, vcc_lo
	s_delay_alu instid0(VALU_DEP_3) | instskip(NEXT) | instid1(VALU_DEP_3)
	v_lshl_or_b32 v6, v5, 16, v4
	v_add_co_u32 v4, vcc_lo, v2, s20
	s_wait_alu 0xfffd
	s_delay_alu instid0(VALU_DEP_3)
	v_add_co_ci_u32_e32 v5, vcc_lo, s21, v3, vcc_lo
	s_clause 0x2
	global_store_b32 v[19:20], v7, off
	global_store_b32 v[33:34], v8, off
	;; [unrolled: 1-line block ×5, first 2 shown]
.LBB0_23:
	s_nop 0
	s_sendmsg sendmsg(MSG_DEALLOC_VGPRS)
	s_endpgm
	.section	.rodata,"a",@progbits
	.p2align	6, 0x0
	.amdhsa_kernel bluestein_single_fwd_len140_dim1_half_op_CI_CI
		.amdhsa_group_segment_fixed_size 1120
		.amdhsa_private_segment_fixed_size 0
		.amdhsa_kernarg_size 104
		.amdhsa_user_sgpr_count 2
		.amdhsa_user_sgpr_dispatch_ptr 0
		.amdhsa_user_sgpr_queue_ptr 0
		.amdhsa_user_sgpr_kernarg_segment_ptr 1
		.amdhsa_user_sgpr_dispatch_id 0
		.amdhsa_user_sgpr_private_segment_size 0
		.amdhsa_wavefront_size32 1
		.amdhsa_uses_dynamic_stack 0
		.amdhsa_enable_private_segment 0
		.amdhsa_system_sgpr_workgroup_id_x 1
		.amdhsa_system_sgpr_workgroup_id_y 0
		.amdhsa_system_sgpr_workgroup_id_z 0
		.amdhsa_system_sgpr_workgroup_info 0
		.amdhsa_system_vgpr_workitem_id 0
		.amdhsa_next_free_vgpr 90
		.amdhsa_next_free_sgpr 24
		.amdhsa_reserve_vcc 1
		.amdhsa_float_round_mode_32 0
		.amdhsa_float_round_mode_16_64 0
		.amdhsa_float_denorm_mode_32 3
		.amdhsa_float_denorm_mode_16_64 3
		.amdhsa_fp16_overflow 0
		.amdhsa_workgroup_processor_mode 1
		.amdhsa_memory_ordered 1
		.amdhsa_forward_progress 0
		.amdhsa_round_robin_scheduling 0
		.amdhsa_exception_fp_ieee_invalid_op 0
		.amdhsa_exception_fp_denorm_src 0
		.amdhsa_exception_fp_ieee_div_zero 0
		.amdhsa_exception_fp_ieee_overflow 0
		.amdhsa_exception_fp_ieee_underflow 0
		.amdhsa_exception_fp_ieee_inexact 0
		.amdhsa_exception_int_div_zero 0
	.end_amdhsa_kernel
	.text
.Lfunc_end0:
	.size	bluestein_single_fwd_len140_dim1_half_op_CI_CI, .Lfunc_end0-bluestein_single_fwd_len140_dim1_half_op_CI_CI
                                        ; -- End function
	.section	.AMDGPU.csdata,"",@progbits
; Kernel info:
; codeLenInByte = 10116
; NumSgprs: 26
; NumVgprs: 90
; ScratchSize: 0
; MemoryBound: 0
; FloatMode: 240
; IeeeMode: 1
; LDSByteSize: 1120 bytes/workgroup (compile time only)
; SGPRBlocks: 3
; VGPRBlocks: 11
; NumSGPRsForWavesPerEU: 26
; NumVGPRsForWavesPerEU: 90
; Occupancy: 16
; WaveLimiterHint : 1
; COMPUTE_PGM_RSRC2:SCRATCH_EN: 0
; COMPUTE_PGM_RSRC2:USER_SGPR: 2
; COMPUTE_PGM_RSRC2:TRAP_HANDLER: 0
; COMPUTE_PGM_RSRC2:TGID_X_EN: 1
; COMPUTE_PGM_RSRC2:TGID_Y_EN: 0
; COMPUTE_PGM_RSRC2:TGID_Z_EN: 0
; COMPUTE_PGM_RSRC2:TIDIG_COMP_CNT: 0
	.text
	.p2alignl 7, 3214868480
	.fill 96, 4, 3214868480
	.type	__hip_cuid_6e8043a7d6d73c79,@object ; @__hip_cuid_6e8043a7d6d73c79
	.section	.bss,"aw",@nobits
	.globl	__hip_cuid_6e8043a7d6d73c79
__hip_cuid_6e8043a7d6d73c79:
	.byte	0                               ; 0x0
	.size	__hip_cuid_6e8043a7d6d73c79, 1

	.ident	"AMD clang version 19.0.0git (https://github.com/RadeonOpenCompute/llvm-project roc-6.4.0 25133 c7fe45cf4b819c5991fe208aaa96edf142730f1d)"
	.section	".note.GNU-stack","",@progbits
	.addrsig
	.addrsig_sym __hip_cuid_6e8043a7d6d73c79
	.amdgpu_metadata
---
amdhsa.kernels:
  - .args:
      - .actual_access:  read_only
        .address_space:  global
        .offset:         0
        .size:           8
        .value_kind:     global_buffer
      - .actual_access:  read_only
        .address_space:  global
        .offset:         8
        .size:           8
        .value_kind:     global_buffer
      - .actual_access:  read_only
        .address_space:  global
        .offset:         16
        .size:           8
        .value_kind:     global_buffer
      - .actual_access:  read_only
        .address_space:  global
        .offset:         24
        .size:           8
        .value_kind:     global_buffer
      - .actual_access:  read_only
        .address_space:  global
        .offset:         32
        .size:           8
        .value_kind:     global_buffer
      - .offset:         40
        .size:           8
        .value_kind:     by_value
      - .address_space:  global
        .offset:         48
        .size:           8
        .value_kind:     global_buffer
      - .address_space:  global
        .offset:         56
        .size:           8
        .value_kind:     global_buffer
      - .address_space:  global
        .offset:         64
        .size:           8
        .value_kind:     global_buffer
      - .address_space:  global
        .offset:         72
        .size:           8
        .value_kind:     global_buffer
      - .offset:         80
        .size:           4
        .value_kind:     by_value
      - .address_space:  global
        .offset:         88
        .size:           8
        .value_kind:     global_buffer
      - .address_space:  global
        .offset:         96
        .size:           8
        .value_kind:     global_buffer
    .group_segment_fixed_size: 1120
    .kernarg_segment_align: 8
    .kernarg_segment_size: 104
    .language:       OpenCL C
    .language_version:
      - 2
      - 0
    .max_flat_workgroup_size: 56
    .name:           bluestein_single_fwd_len140_dim1_half_op_CI_CI
    .private_segment_fixed_size: 0
    .sgpr_count:     26
    .sgpr_spill_count: 0
    .symbol:         bluestein_single_fwd_len140_dim1_half_op_CI_CI.kd
    .uniform_work_group_size: 1
    .uses_dynamic_stack: false
    .vgpr_count:     90
    .vgpr_spill_count: 0
    .wavefront_size: 32
    .workgroup_processor_mode: 1
amdhsa.target:   amdgcn-amd-amdhsa--gfx1201
amdhsa.version:
  - 1
  - 2
...

	.end_amdgpu_metadata
